;; amdgpu-corpus repo=ROCm/rocFFT kind=compiled arch=gfx950 opt=O3
	.text
	.amdgcn_target "amdgcn-amd-amdhsa--gfx950"
	.amdhsa_code_object_version 6
	.protected	fft_rtc_fwd_len672_factors_2_2_2_2_2_3_7_wgs_56_tpt_56_halfLds_half_op_CI_CI_unitstride_sbrr_dirReg ; -- Begin function fft_rtc_fwd_len672_factors_2_2_2_2_2_3_7_wgs_56_tpt_56_halfLds_half_op_CI_CI_unitstride_sbrr_dirReg
	.globl	fft_rtc_fwd_len672_factors_2_2_2_2_2_3_7_wgs_56_tpt_56_halfLds_half_op_CI_CI_unitstride_sbrr_dirReg
	.p2align	8
	.type	fft_rtc_fwd_len672_factors_2_2_2_2_2_3_7_wgs_56_tpt_56_halfLds_half_op_CI_CI_unitstride_sbrr_dirReg,@function
fft_rtc_fwd_len672_factors_2_2_2_2_2_3_7_wgs_56_tpt_56_halfLds_half_op_CI_CI_unitstride_sbrr_dirReg: ; @fft_rtc_fwd_len672_factors_2_2_2_2_2_3_7_wgs_56_tpt_56_halfLds_half_op_CI_CI_unitstride_sbrr_dirReg
; %bb.0:
	s_load_dwordx4 s[8:11], s[0:1], 0x58
	s_load_dwordx4 s[4:7], s[0:1], 0x0
	;; [unrolled: 1-line block ×3, first 2 shown]
	v_mul_u32_u24_e32 v1, 0x493, v0
	v_add_u32_sdwa v10, s2, v1 dst_sel:DWORD dst_unused:UNUSED_PAD src0_sel:DWORD src1_sel:WORD_1
	v_mov_b32_e32 v8, 0
	s_waitcnt lgkmcnt(0)
	v_cmp_lt_u64_e64 s[2:3], s[6:7], 2
	v_mov_b32_e32 v11, v8
	s_and_b64 vcc, exec, s[2:3]
	v_mov_b64_e32 v[6:7], 0
	s_cbranch_vccnz .LBB0_8
; %bb.1:
	s_load_dwordx2 s[2:3], s[0:1], 0x10
	s_add_u32 s16, s14, 8
	s_addc_u32 s17, s15, 0
	s_add_u32 s18, s12, 8
	s_addc_u32 s19, s13, 0
	s_waitcnt lgkmcnt(0)
	s_add_u32 s20, s2, 8
	v_mov_b64_e32 v[6:7], 0
	s_addc_u32 s21, s3, 0
	s_mov_b64 s[22:23], 1
	v_mov_b64_e32 v[2:3], v[6:7]
.LBB0_2:                                ; =>This Inner Loop Header: Depth=1
	s_load_dwordx2 s[24:25], s[20:21], 0x0
                                        ; implicit-def: $vgpr4_vgpr5
	s_waitcnt lgkmcnt(0)
	v_or_b32_e32 v9, s25, v11
	v_cmp_ne_u64_e32 vcc, 0, v[8:9]
	s_and_saveexec_b64 s[2:3], vcc
	s_xor_b64 s[26:27], exec, s[2:3]
	s_cbranch_execz .LBB0_4
; %bb.3:                                ;   in Loop: Header=BB0_2 Depth=1
	v_cvt_f32_u32_e32 v1, s24
	v_cvt_f32_u32_e32 v4, s25
	s_sub_u32 s2, 0, s24
	s_subb_u32 s3, 0, s25
	v_fmac_f32_e32 v1, 0x4f800000, v4
	v_rcp_f32_e32 v1, v1
	s_nop 0
	v_mul_f32_e32 v1, 0x5f7ffffc, v1
	v_mul_f32_e32 v4, 0x2f800000, v1
	v_trunc_f32_e32 v4, v4
	v_fmac_f32_e32 v1, 0xcf800000, v4
	v_cvt_u32_f32_e32 v9, v4
	v_cvt_u32_f32_e32 v1, v1
	v_mul_lo_u32 v4, s2, v9
	v_mul_hi_u32 v12, s2, v1
	v_mul_lo_u32 v5, s3, v1
	v_add_u32_e32 v12, v12, v4
	v_mul_lo_u32 v14, s2, v1
	v_add_u32_e32 v15, v12, v5
	v_mul_hi_u32 v4, v1, v14
	v_mul_hi_u32 v13, v1, v15
	v_mul_lo_u32 v12, v1, v15
	v_mov_b32_e32 v5, v8
	v_lshl_add_u64 v[4:5], v[4:5], 0, v[12:13]
	v_mul_hi_u32 v13, v9, v14
	v_mul_lo_u32 v14, v9, v14
	v_add_co_u32_e32 v4, vcc, v4, v14
	v_mul_hi_u32 v12, v9, v15
	s_nop 0
	v_addc_co_u32_e32 v4, vcc, v5, v13, vcc
	v_mov_b32_e32 v5, v8
	s_nop 0
	v_addc_co_u32_e32 v13, vcc, 0, v12, vcc
	v_mul_lo_u32 v12, v9, v15
	v_lshl_add_u64 v[4:5], v[4:5], 0, v[12:13]
	v_add_co_u32_e32 v1, vcc, v1, v4
	v_mul_lo_u32 v12, s2, v1
	s_nop 0
	v_addc_co_u32_e32 v9, vcc, v9, v5, vcc
	v_mul_lo_u32 v4, s2, v9
	v_mul_hi_u32 v5, s2, v1
	v_add_u32_e32 v4, v5, v4
	v_mul_lo_u32 v5, s3, v1
	v_add_u32_e32 v14, v4, v5
	v_mul_hi_u32 v16, v9, v12
	v_mul_lo_u32 v17, v9, v12
	v_mul_hi_u32 v5, v1, v14
	v_mul_lo_u32 v4, v1, v14
	v_mul_hi_u32 v12, v1, v12
	v_mov_b32_e32 v13, v8
	v_lshl_add_u64 v[4:5], v[12:13], 0, v[4:5]
	v_add_co_u32_e32 v4, vcc, v4, v17
	v_mul_hi_u32 v15, v9, v14
	s_nop 0
	v_addc_co_u32_e32 v4, vcc, v5, v16, vcc
	v_mul_lo_u32 v12, v9, v14
	s_nop 0
	v_addc_co_u32_e32 v13, vcc, 0, v15, vcc
	v_mov_b32_e32 v5, v8
	v_lshl_add_u64 v[4:5], v[4:5], 0, v[12:13]
	v_add_co_u32_e32 v1, vcc, v1, v4
	v_mul_hi_u32 v12, v10, v1
	s_nop 0
	v_addc_co_u32_e32 v9, vcc, v9, v5, vcc
	v_mad_u64_u32 v[4:5], s[2:3], v10, v9, 0
	v_mov_b32_e32 v13, v8
	v_lshl_add_u64 v[4:5], v[12:13], 0, v[4:5]
	v_mad_u64_u32 v[14:15], s[2:3], v11, v1, 0
	v_add_co_u32_e32 v1, vcc, v4, v14
	v_mad_u64_u32 v[12:13], s[2:3], v11, v9, 0
	s_nop 0
	v_addc_co_u32_e32 v4, vcc, v5, v15, vcc
	v_mov_b32_e32 v5, v8
	s_nop 0
	v_addc_co_u32_e32 v13, vcc, 0, v13, vcc
	v_lshl_add_u64 v[4:5], v[4:5], 0, v[12:13]
	v_mul_lo_u32 v1, s25, v4
	v_mul_lo_u32 v9, s24, v5
	v_mad_u64_u32 v[12:13], s[2:3], s24, v4, 0
	v_add3_u32 v1, v13, v9, v1
	v_sub_u32_e32 v9, v11, v1
	v_mov_b32_e32 v13, s25
	v_sub_co_u32_e32 v16, vcc, v10, v12
	v_lshl_add_u64 v[14:15], v[4:5], 0, 1
	s_nop 0
	v_subb_co_u32_e64 v9, s[2:3], v9, v13, vcc
	v_subrev_co_u32_e64 v12, s[2:3], s24, v16
	v_subb_co_u32_e32 v1, vcc, v11, v1, vcc
	s_nop 0
	v_subbrev_co_u32_e64 v9, s[2:3], 0, v9, s[2:3]
	v_cmp_le_u32_e64 s[2:3], s25, v9
	v_cmp_le_u32_e32 vcc, s25, v1
	s_nop 0
	v_cndmask_b32_e64 v13, 0, -1, s[2:3]
	v_cmp_le_u32_e64 s[2:3], s24, v12
	s_nop 1
	v_cndmask_b32_e64 v12, 0, -1, s[2:3]
	v_cmp_eq_u32_e64 s[2:3], s25, v9
	s_nop 1
	v_cndmask_b32_e64 v9, v13, v12, s[2:3]
	v_lshl_add_u64 v[12:13], v[4:5], 0, 2
	v_cmp_ne_u32_e64 s[2:3], 0, v9
	s_nop 1
	v_cndmask_b32_e64 v9, v15, v13, s[2:3]
	v_cndmask_b32_e64 v13, 0, -1, vcc
	v_cmp_le_u32_e32 vcc, s24, v16
	s_nop 1
	v_cndmask_b32_e64 v15, 0, -1, vcc
	v_cmp_eq_u32_e32 vcc, s25, v1
	s_nop 1
	v_cndmask_b32_e32 v1, v13, v15, vcc
	v_cmp_ne_u32_e32 vcc, 0, v1
	v_cndmask_b32_e64 v1, v14, v12, s[2:3]
	s_nop 0
	v_cndmask_b32_e32 v5, v5, v9, vcc
	v_cndmask_b32_e32 v4, v4, v1, vcc
.LBB0_4:                                ;   in Loop: Header=BB0_2 Depth=1
	s_andn2_saveexec_b64 s[2:3], s[26:27]
	s_cbranch_execz .LBB0_6
; %bb.5:                                ;   in Loop: Header=BB0_2 Depth=1
	v_cvt_f32_u32_e32 v1, s24
	s_sub_i32 s26, 0, s24
	v_rcp_iflag_f32_e32 v1, v1
	s_nop 0
	v_mul_f32_e32 v1, 0x4f7ffffe, v1
	v_cvt_u32_f32_e32 v1, v1
	v_mul_lo_u32 v4, s26, v1
	v_mul_hi_u32 v4, v1, v4
	v_add_u32_e32 v1, v1, v4
	v_mul_hi_u32 v1, v10, v1
	v_mul_lo_u32 v4, v1, s24
	v_sub_u32_e32 v4, v10, v4
	v_add_u32_e32 v5, 1, v1
	v_subrev_u32_e32 v9, s24, v4
	v_cmp_le_u32_e32 vcc, s24, v4
	s_nop 1
	v_cndmask_b32_e32 v4, v4, v9, vcc
	v_cndmask_b32_e32 v1, v1, v5, vcc
	v_add_u32_e32 v5, 1, v1
	v_cmp_le_u32_e32 vcc, s24, v4
	s_nop 1
	v_cndmask_b32_e32 v4, v1, v5, vcc
	v_mov_b32_e32 v5, v8
.LBB0_6:                                ;   in Loop: Header=BB0_2 Depth=1
	s_or_b64 exec, exec, s[2:3]
	v_mad_u64_u32 v[12:13], s[2:3], v4, s24, 0
	s_load_dwordx2 s[2:3], s[18:19], 0x0
	v_mul_lo_u32 v1, v5, s24
	v_mul_lo_u32 v9, v4, s25
	s_load_dwordx2 s[24:25], s[16:17], 0x0
	s_add_u32 s22, s22, 1
	v_add3_u32 v1, v13, v9, v1
	v_sub_co_u32_e32 v9, vcc, v10, v12
	s_addc_u32 s23, s23, 0
	s_nop 0
	v_subb_co_u32_e32 v1, vcc, v11, v1, vcc
	s_add_u32 s16, s16, 8
	s_waitcnt lgkmcnt(0)
	v_mul_lo_u32 v10, s2, v1
	v_mul_lo_u32 v11, s3, v9
	v_mad_u64_u32 v[6:7], s[2:3], s2, v9, v[6:7]
	s_addc_u32 s17, s17, 0
	v_add3_u32 v7, v11, v7, v10
	v_mul_lo_u32 v1, s24, v1
	v_mul_lo_u32 v10, s25, v9
	v_mad_u64_u32 v[2:3], s[2:3], s24, v9, v[2:3]
	s_add_u32 s18, s18, 8
	v_add3_u32 v3, v10, v3, v1
	s_addc_u32 s19, s19, 0
	v_mov_b64_e32 v[10:11], s[6:7]
	s_add_u32 s20, s20, 8
	v_cmp_ge_u64_e32 vcc, s[22:23], v[10:11]
	s_addc_u32 s21, s21, 0
	s_cbranch_vccnz .LBB0_9
; %bb.7:                                ;   in Loop: Header=BB0_2 Depth=1
	v_mov_b64_e32 v[10:11], v[4:5]
	s_branch .LBB0_2
.LBB0_8:
	v_mov_b64_e32 v[2:3], v[6:7]
	v_mov_b64_e32 v[4:5], v[10:11]
.LBB0_9:
	s_load_dwordx2 s[0:1], s[0:1], 0x28
	s_lshl_b64 s[6:7], s[6:7], 3
	s_add_u32 s2, s14, s6
	s_addc_u32 s3, s15, s7
                                        ; implicit-def: $sgpr14
                                        ; implicit-def: $vgpr8
	s_waitcnt lgkmcnt(0)
	v_cmp_gt_u64_e32 vcc, s[0:1], v[4:5]
	v_cmp_le_u64_e64 s[0:1], s[0:1], v[4:5]
	s_and_saveexec_b64 s[16:17], s[0:1]
	s_xor_b64 s[0:1], exec, s[16:17]
; %bb.10:
	s_mov_b32 s14, 0x4924925
	v_mul_hi_u32 v1, v0, s14
	v_mul_u32_u24_e32 v1, 56, v1
	v_sub_u32_e32 v8, v0, v1
	s_mov_b32 s14, 0
                                        ; implicit-def: $vgpr0
                                        ; implicit-def: $vgpr6_vgpr7
; %bb.11:
	s_or_saveexec_b64 s[0:1], s[0:1]
	v_mov_b32_e32 v9, s14
	v_mov_b32_e32 v12, s14
	;; [unrolled: 1-line block ×6, first 2 shown]
                                        ; implicit-def: $vgpr25
                                        ; implicit-def: $vgpr1
                                        ; implicit-def: $vgpr24
                                        ; implicit-def: $vgpr10
                                        ; implicit-def: $vgpr23
                                        ; implicit-def: $vgpr18
                                        ; implicit-def: $vgpr22
                                        ; implicit-def: $vgpr14
                                        ; implicit-def: $vgpr20
                                        ; implicit-def: $vgpr11
                                        ; implicit-def: $vgpr19
                                        ; implicit-def: $vgpr15
	s_xor_b64 exec, exec, s[0:1]
	s_cbranch_execz .LBB0_13
; %bb.12:
	s_add_u32 s6, s12, s6
	s_addc_u32 s7, s13, s7
	s_load_dwordx2 s[6:7], s[6:7], 0x0
	s_mov_b32 s12, 0x4924925
	s_waitcnt lgkmcnt(0)
	v_mul_lo_u32 v1, s7, v4
	v_mul_lo_u32 v8, s6, v5
	v_mad_u64_u32 v[10:11], s[6:7], s6, v4, 0
	v_add3_u32 v11, v11, v8, v1
	v_mul_hi_u32 v1, v0, s12
	v_mul_u32_u24_e32 v1, 56, v1
	v_sub_u32_e32 v8, v0, v1
	v_lshl_add_u64 v[0:1], v[10:11], 2, s[8:9]
	v_lshl_add_u64 v[0:1], v[6:7], 2, v[0:1]
	v_lshlrev_b32_e32 v6, 2, v8
	v_mov_b32_e32 v7, 0
	v_lshl_add_u64 v[6:7], v[0:1], 0, v[6:7]
	global_load_dword v1, v[6:7], off offset:1344
	global_load_dword v10, v[6:7], off offset:1568
	global_load_dword v9, v[6:7], off
	global_load_dword v12, v[6:7], off offset:224
	global_load_dword v13, v[6:7], off offset:448
	;; [unrolled: 1-line block ×9, first 2 shown]
	s_waitcnt vmcnt(11)
	v_lshrrev_b32_e32 v25, 16, v1
	s_waitcnt vmcnt(10)
	v_lshrrev_b32_e32 v24, 16, v10
	;; [unrolled: 2-line block ×6, first 2 shown]
.LBB0_13:
	s_or_b64 exec, exec, s[0:1]
	v_lshrrev_b32_e32 v0, 16, v9
	v_sub_f16_e32 v25, v0, v25
	v_fma_f16 v26, v0, 2.0, -v25
	v_lshrrev_b32_e32 v0, 16, v12
	v_sub_f16_e32 v7, v12, v10
	v_sub_f16_e32 v10, v0, v24
	v_fma_f16 v24, v0, 2.0, -v10
	v_lshrrev_b32_e32 v0, 16, v13
	v_sub_f16_e32 v23, v0, v23
	v_fma_f16 v27, v0, 2.0, -v23
	v_lshrrev_b32_e32 v0, 16, v16
	;; [unrolled: 3-line block ×3, first 2 shown]
	v_sub_f16_e32 v20, v0, v20
	v_sub_f16_e32 v1, v9, v1
	v_fma_f16 v29, v0, 2.0, -v20
	s_waitcnt vmcnt(0)
	v_lshrrev_b32_e32 v0, 16, v21
	v_fma_f16 v6, v9, 2.0, -v1
	v_sub_f16_e32 v19, v0, v19
	v_fma_f16 v12, v12, 2.0, -v7
	v_sub_f16_e32 v18, v13, v18
	v_fma_f16 v30, v0, 2.0, -v19
	v_lshl_add_u32 v31, v8, 2, 0
	v_pack_b32_f16 v0, v6, v1
	v_add_u32_e32 v6, 56, v8
	v_fma_f16 v13, v13, 2.0, -v18
	v_sub_f16_e32 v14, v16, v14
	ds_write_b32 v31, v0
	v_lshl_add_u32 v32, v6, 2, 0
	v_pack_b32_f16 v0, v12, v7
	v_add_u32_e32 v7, 0x70, v8
	v_fma_f16 v16, v16, 2.0, -v14
	v_sub_f16_e32 v11, v17, v11
	ds_write_b32 v32, v0
	;; [unrolled: 6-line block ×3, first 2 shown]
	v_lshl_add_u32 v13, v1, 2, 0
	v_pack_b32_f16 v0, v16, v14
	v_add_u32_e32 v16, 0xe0, v8
	v_fma_f16 v21, v21, 2.0, -v15
	ds_write_b32 v13, v0
	v_lshl_add_u32 v14, v16, 2, 0
	v_pack_b32_f16 v0, v17, v11
	v_add_u32_e32 v17, 0x118, v8
	v_lshlrev_b32_e32 v9, 1, v8
	ds_write_b32 v14, v0
	v_lshl_add_u32 v11, v17, 2, 0
	v_pack_b32_f16 v0, v21, v15
	ds_write_b32 v11, v0
	v_sub_u32_e32 v0, v31, v9
	v_pack_b32_f16 v10, v24, v10
	s_load_dwordx2 s[2:3], s[2:3], 0x0
	s_waitcnt lgkmcnt(0)
	; wave barrier
	s_waitcnt lgkmcnt(0)
	ds_read_u16 v15, v0 offset:784
	ds_read_u16 v18, v0
	ds_read_u16 v21, v0 offset:112
	ds_read_u16 v33, v0 offset:224
	;; [unrolled: 1-line block ×10, first 2 shown]
	s_waitcnt lgkmcnt(0)
	; wave barrier
	s_waitcnt lgkmcnt(0)
	ds_write_b32 v32, v10
	v_pack_b32_f16 v10, v27, v23
	ds_write_b32 v12, v10
	v_pack_b32_f16 v10, v28, v22
	ds_write_b32 v13, v10
	v_pack_b32_f16 v10, v29, v20
	ds_write_b32 v14, v10
	v_pack_b32_f16 v10, v30, v19
	v_and_b32_e32 v19, 1, v8
	v_pack_b32_f16 v25, v26, v25
	ds_write_b32 v11, v10
	v_lshlrev_b32_e32 v10, 2, v19
	ds_write_b32 v31, v25
	s_waitcnt lgkmcnt(0)
	; wave barrier
	s_waitcnt lgkmcnt(0)
	global_load_dword v20, v10, s[4:5]
	v_lshlrev_b32_e32 v11, 1, v16
	ds_read_u16 v16, v0 offset:784
	ds_read_u16 v22, v0
	ds_read_u16 v23, v0 offset:112
	ds_read_u16 v24, v0 offset:224
	;; [unrolled: 1-line block ×10, first 2 shown]
	s_movk_i32 s0, 0x7c
	v_lshlrev_b32_e32 v14, 1, v6
	s_waitcnt lgkmcnt(0)
	; wave barrier
	s_waitcnt lgkmcnt(0)
	v_lshlrev_b32_e32 v13, 1, v7
	v_lshlrev_b32_e32 v12, 1, v1
	;; [unrolled: 1-line block ×3, first 2 shown]
	v_and_b32_e32 v17, 15, v17
	s_movk_i32 s1, 0x60
	s_movk_i32 s8, 0x3aee
	s_mov_b32 s9, 0xbaee
	s_waitcnt vmcnt(0)
	v_mul_f16_sdwa v42, v27, v20 dst_sel:DWORD dst_unused:UNUSED_PAD src0_sel:DWORD src1_sel:WORD_1
	v_fma_f16 v42, v36, v20, -v42
	v_mul_f16_sdwa v36, v36, v20 dst_sel:DWORD dst_unused:UNUSED_PAD src0_sel:DWORD src1_sel:WORD_1
	v_fma_f16 v27, v27, v20, v36
	v_mul_f16_sdwa v36, v16, v20 dst_sel:DWORD dst_unused:UNUSED_PAD src0_sel:DWORD src1_sel:WORD_1
	v_fma_f16 v36, v15, v20, -v36
	v_mul_f16_sdwa v15, v15, v20 dst_sel:DWORD dst_unused:UNUSED_PAD src0_sel:DWORD src1_sel:WORD_1
	v_fma_f16 v15, v16, v20, v15
	;; [unrolled: 4-line block ×6, first 2 shown]
	v_sub_f16_e32 v32, v18, v42
	v_and_or_b32 v41, v9, s0, v19
	v_fma_f16 v18, v18, 2.0, -v32
	v_lshl_add_u32 v41, v41, 1, 0
	s_movk_i32 s0, 0xfc
	v_sub_f16_e32 v36, v21, v36
	ds_write_b16 v41, v18
	ds_write_b16 v41, v32 offset:4
	v_and_or_b32 v18, v14, s0, v19
	v_fma_f16 v21, v21, 2.0, -v36
	v_lshl_add_u32 v18, v18, 1, 0
	s_movk_i32 s0, 0x1fc
	v_sub_f16_e32 v16, v33, v16
	ds_write_b16 v18, v21
	ds_write_b16 v18, v36 offset:4
	v_and_or_b32 v21, v13, s0, v19
	v_fma_f16 v33, v33, 2.0, -v16
	v_lshl_add_u32 v21, v21, 1, 0
	ds_write_b16 v21, v33
	ds_write_b16 v21, v16 offset:4
	v_and_or_b32 v16, v12, s0, v19
	s_movk_i32 s0, 0x3fc
	v_and_or_b32 v32, v11, s0, v19
	s_movk_i32 s0, 0x2fc
	v_sub_f16_e32 v27, v22, v27
	v_sub_f16_e32 v38, v34, v38
	;; [unrolled: 1-line block ×4, first 2 shown]
	v_and_or_b32 v19, v10, s0, v19
	v_fma_f16 v22, v22, 2.0, -v27
	v_sub_f16_e32 v15, v23, v15
	v_sub_f16_e32 v29, v24, v29
	;; [unrolled: 1-line block ×3, first 2 shown]
	v_fma_f16 v34, v34, 2.0, -v38
	v_sub_f16_e32 v31, v26, v31
	v_fma_f16 v35, v35, 2.0, -v39
	v_sub_f16_e32 v20, v28, v20
	v_fma_f16 v37, v37, 2.0, -v40
	v_lshl_add_u32 v16, v16, 1, 0
	v_lshl_add_u32 v32, v32, 1, 0
	v_lshl_add_u32 v19, v19, 1, 0
	v_fma_f16 v23, v23, 2.0, -v15
	v_fma_f16 v24, v24, 2.0, -v29
	;; [unrolled: 1-line block ×5, first 2 shown]
	ds_write_b16 v16, v34
	ds_write_b16 v16, v38 offset:4
	ds_write_b16 v32, v35
	ds_write_b16 v32, v39 offset:4
	;; [unrolled: 2-line block ×3, first 2 shown]
	s_waitcnt lgkmcnt(0)
	; wave barrier
	s_waitcnt lgkmcnt(0)
	ds_read_u16 v33, v0 offset:784
	ds_read_u16 v34, v0
	ds_read_u16 v35, v0 offset:112
	ds_read_u16 v36, v0 offset:224
	;; [unrolled: 1-line block ×10, first 2 shown]
	s_waitcnt lgkmcnt(0)
	; wave barrier
	s_waitcnt lgkmcnt(0)
	ds_write_b16 v41, v22
	ds_write_b16 v41, v27 offset:4
	ds_write_b16 v18, v23
	ds_write_b16 v18, v15 offset:4
	;; [unrolled: 2-line block ×6, first 2 shown]
	v_and_b32_e32 v15, 3, v8
	v_lshlrev_b32_e32 v16, 2, v15
	s_waitcnt lgkmcnt(0)
	; wave barrier
	s_waitcnt lgkmcnt(0)
	global_load_dword v16, v16, s[4:5] offset:8
	ds_read_u16 v18, v0 offset:784
	ds_read_u16 v19, v0
	ds_read_u16 v20, v0 offset:112
	ds_read_u16 v21, v0 offset:224
	;; [unrolled: 1-line block ×10, first 2 shown]
	s_movk_i32 s0, 0x78
	s_waitcnt lgkmcnt(0)
	; wave barrier
	s_waitcnt vmcnt(0) lgkmcnt(0)
	v_mul_f16_sdwa v31, v39, v16 dst_sel:DWORD dst_unused:UNUSED_PAD src0_sel:DWORD src1_sel:WORD_1
	v_mul_f16_sdwa v30, v24, v16 dst_sel:DWORD dst_unused:UNUSED_PAD src0_sel:DWORD src1_sel:WORD_1
	v_fma_f16 v24, v24, v16, v31
	v_mul_f16_sdwa v31, v18, v16 dst_sel:DWORD dst_unused:UNUSED_PAD src0_sel:DWORD src1_sel:WORD_1
	v_fma_f16 v31, v33, v16, -v31
	v_mul_f16_sdwa v32, v33, v16 dst_sel:DWORD dst_unused:UNUSED_PAD src0_sel:DWORD src1_sel:WORD_1
	v_mul_f16_sdwa v33, v42, v16 dst_sel:DWORD dst_unused:UNUSED_PAD src0_sel:DWORD src1_sel:WORD_1
	v_fma_f16 v30, v39, v16, -v30
	v_fma_f16 v18, v18, v16, v32
	v_mul_f16_sdwa v32, v26, v16 dst_sel:DWORD dst_unused:UNUSED_PAD src0_sel:DWORD src1_sel:WORD_1
	v_fma_f16 v26, v26, v16, v33
	v_mul_f16_sdwa v33, v27, v16 dst_sel:DWORD dst_unused:UNUSED_PAD src0_sel:DWORD src1_sel:WORD_1
	v_mul_f16_sdwa v39, v43, v16 dst_sel:DWORD dst_unused:UNUSED_PAD src0_sel:DWORD src1_sel:WORD_1
	;; [unrolled: 1-line block ×3, first 2 shown]
	v_fma_f16 v32, v42, v16, -v32
	v_fma_f16 v33, v43, v16, -v33
	v_fma_f16 v27, v27, v16, v39
	v_mul_f16_sdwa v39, v28, v16 dst_sel:DWORD dst_unused:UNUSED_PAD src0_sel:DWORD src1_sel:WORD_1
	v_fma_f16 v28, v28, v16, v41
	v_mul_f16_sdwa v41, v29, v16 dst_sel:DWORD dst_unused:UNUSED_PAD src0_sel:DWORD src1_sel:WORD_1
	v_mul_f16_sdwa v42, v45, v16 dst_sel:DWORD dst_unused:UNUSED_PAD src0_sel:DWORD src1_sel:WORD_1
	v_fma_f16 v39, v44, v16, -v39
	v_fma_f16 v41, v45, v16, -v41
	v_fma_f16 v16, v29, v16, v42
	v_sub_f16_e32 v29, v34, v30
	v_sub_f16_e32 v31, v35, v31
	;; [unrolled: 1-line block ×4, first 2 shown]
	v_fma_f16 v30, v34, 2.0, -v29
	v_fma_f16 v34, v35, 2.0, -v31
	;; [unrolled: 1-line block ×4, first 2 shown]
	v_sub_f16_e32 v37, v38, v39
	v_sub_f16_e32 v39, v40, v41
	v_and_or_b32 v41, v9, s0, v15
	v_lshl_add_u32 v41, v41, 1, 0
	s_movk_i32 s0, 0xf8
	ds_write_b16 v41, v30
	ds_write_b16 v41, v29 offset:8
	v_and_or_b32 v29, v14, s0, v15
	s_movk_i32 s0, 0x1f8
	v_lshl_add_u32 v29, v29, 1, 0
	v_and_or_b32 v30, v13, s0, v15
	ds_write_b16 v29, v34
	ds_write_b16 v29, v31 offset:8
	v_lshl_add_u32 v30, v30, 1, 0
	v_and_or_b32 v31, v12, s0, v15
	s_movk_i32 s0, 0x3f8
	ds_write_b16 v30, v35
	ds_write_b16 v30, v32 offset:8
	v_and_or_b32 v32, v11, s0, v15
	s_movk_i32 s0, 0x2f8
	v_sub_f16_e32 v24, v19, v24
	v_and_or_b32 v15, v10, s0, v15
	v_fma_f16 v19, v19, 2.0, -v24
	v_sub_f16_e32 v18, v20, v18
	v_sub_f16_e32 v26, v21, v26
	;; [unrolled: 1-line block ×4, first 2 shown]
	v_fma_f16 v38, v38, 2.0, -v37
	v_sub_f16_e32 v16, v25, v16
	v_fma_f16 v40, v40, 2.0, -v39
	v_lshl_add_u32 v31, v31, 1, 0
	v_lshl_add_u32 v32, v32, 1, 0
	;; [unrolled: 1-line block ×3, first 2 shown]
	v_fma_f16 v20, v20, 2.0, -v18
	v_fma_f16 v21, v21, 2.0, -v26
	;; [unrolled: 1-line block ×5, first 2 shown]
	ds_write_b16 v31, v36
	ds_write_b16 v31, v33 offset:8
	ds_write_b16 v32, v38
	ds_write_b16 v32, v37 offset:8
	;; [unrolled: 2-line block ×3, first 2 shown]
	s_waitcnt lgkmcnt(0)
	; wave barrier
	s_waitcnt lgkmcnt(0)
	ds_read_u16 v33, v0 offset:784
	ds_read_u16 v34, v0
	ds_read_u16 v35, v0 offset:112
	ds_read_u16 v36, v0 offset:224
	;; [unrolled: 1-line block ×10, first 2 shown]
	s_waitcnt lgkmcnt(0)
	; wave barrier
	s_waitcnt lgkmcnt(0)
	ds_write_b16 v41, v19
	ds_write_b16 v41, v24 offset:8
	ds_write_b16 v29, v20
	ds_write_b16 v29, v18 offset:8
	;; [unrolled: 2-line block ×6, first 2 shown]
	v_and_b32_e32 v15, 7, v8
	v_lshlrev_b32_e32 v16, 2, v15
	s_waitcnt lgkmcnt(0)
	; wave barrier
	s_waitcnt lgkmcnt(0)
	global_load_dword v16, v16, s[4:5] offset:24
	ds_read_u16 v18, v0 offset:784
	ds_read_u16 v19, v0
	ds_read_u16 v20, v0 offset:112
	ds_read_u16 v21, v0 offset:224
	;; [unrolled: 1-line block ×10, first 2 shown]
	s_movk_i32 s0, 0x70
	s_waitcnt lgkmcnt(0)
	; wave barrier
	s_waitcnt vmcnt(0) lgkmcnt(0)
	v_mul_f16_sdwa v31, v39, v16 dst_sel:DWORD dst_unused:UNUSED_PAD src0_sel:DWORD src1_sel:WORD_1
	v_mul_f16_sdwa v30, v24, v16 dst_sel:DWORD dst_unused:UNUSED_PAD src0_sel:DWORD src1_sel:WORD_1
	v_fma_f16 v24, v24, v16, v31
	v_mul_f16_sdwa v31, v18, v16 dst_sel:DWORD dst_unused:UNUSED_PAD src0_sel:DWORD src1_sel:WORD_1
	v_fma_f16 v31, v33, v16, -v31
	v_mul_f16_sdwa v32, v33, v16 dst_sel:DWORD dst_unused:UNUSED_PAD src0_sel:DWORD src1_sel:WORD_1
	v_mul_f16_sdwa v33, v42, v16 dst_sel:DWORD dst_unused:UNUSED_PAD src0_sel:DWORD src1_sel:WORD_1
	v_fma_f16 v30, v39, v16, -v30
	v_fma_f16 v18, v18, v16, v32
	v_mul_f16_sdwa v32, v26, v16 dst_sel:DWORD dst_unused:UNUSED_PAD src0_sel:DWORD src1_sel:WORD_1
	v_fma_f16 v26, v26, v16, v33
	v_mul_f16_sdwa v33, v27, v16 dst_sel:DWORD dst_unused:UNUSED_PAD src0_sel:DWORD src1_sel:WORD_1
	v_mul_f16_sdwa v39, v43, v16 dst_sel:DWORD dst_unused:UNUSED_PAD src0_sel:DWORD src1_sel:WORD_1
	;; [unrolled: 1-line block ×3, first 2 shown]
	v_fma_f16 v32, v42, v16, -v32
	v_fma_f16 v33, v43, v16, -v33
	v_fma_f16 v27, v27, v16, v39
	v_mul_f16_sdwa v39, v28, v16 dst_sel:DWORD dst_unused:UNUSED_PAD src0_sel:DWORD src1_sel:WORD_1
	v_fma_f16 v28, v28, v16, v41
	v_mul_f16_sdwa v41, v29, v16 dst_sel:DWORD dst_unused:UNUSED_PAD src0_sel:DWORD src1_sel:WORD_1
	v_mul_f16_sdwa v42, v45, v16 dst_sel:DWORD dst_unused:UNUSED_PAD src0_sel:DWORD src1_sel:WORD_1
	v_fma_f16 v39, v44, v16, -v39
	v_fma_f16 v41, v45, v16, -v41
	v_fma_f16 v16, v29, v16, v42
	v_sub_f16_e32 v29, v34, v30
	v_sub_f16_e32 v31, v35, v31
	v_sub_f16_e32 v32, v36, v32
	v_sub_f16_e32 v33, v37, v33
	v_fma_f16 v30, v34, 2.0, -v29
	v_fma_f16 v34, v35, 2.0, -v31
	;; [unrolled: 1-line block ×4, first 2 shown]
	v_sub_f16_e32 v37, v38, v39
	v_sub_f16_e32 v39, v40, v41
	v_and_or_b32 v41, v9, s0, v15
	v_lshl_add_u32 v41, v41, 1, 0
	s_movk_i32 s0, 0xf0
	ds_write_b16 v41, v30
	ds_write_b16 v41, v29 offset:16
	v_and_or_b32 v29, v14, s0, v15
	s_movk_i32 s0, 0x1f0
	v_lshl_add_u32 v29, v29, 1, 0
	v_and_or_b32 v30, v13, s0, v15
	ds_write_b16 v29, v34
	ds_write_b16 v29, v31 offset:16
	v_lshl_add_u32 v30, v30, 1, 0
	v_and_or_b32 v31, v12, s0, v15
	s_movk_i32 s0, 0x3f0
	ds_write_b16 v30, v35
	ds_write_b16 v30, v32 offset:16
	v_and_or_b32 v32, v11, s0, v15
	s_movk_i32 s0, 0x2f0
	v_sub_f16_e32 v24, v19, v24
	v_and_or_b32 v15, v10, s0, v15
	v_fma_f16 v19, v19, 2.0, -v24
	v_sub_f16_e32 v18, v20, v18
	v_sub_f16_e32 v26, v21, v26
	v_sub_f16_e32 v27, v22, v27
	v_sub_f16_e32 v28, v23, v28
	v_fma_f16 v38, v38, 2.0, -v37
	v_sub_f16_e32 v16, v25, v16
	v_fma_f16 v40, v40, 2.0, -v39
	v_lshl_add_u32 v31, v31, 1, 0
	v_lshl_add_u32 v32, v32, 1, 0
	;; [unrolled: 1-line block ×3, first 2 shown]
	v_fma_f16 v20, v20, 2.0, -v18
	v_fma_f16 v21, v21, 2.0, -v26
	;; [unrolled: 1-line block ×5, first 2 shown]
	ds_write_b16 v31, v36
	ds_write_b16 v31, v33 offset:16
	ds_write_b16 v32, v38
	ds_write_b16 v32, v37 offset:16
	;; [unrolled: 2-line block ×3, first 2 shown]
	s_waitcnt lgkmcnt(0)
	; wave barrier
	s_waitcnt lgkmcnt(0)
	ds_read_u16 v33, v0 offset:784
	ds_read_u16 v34, v0
	ds_read_u16 v35, v0 offset:112
	ds_read_u16 v36, v0 offset:224
	;; [unrolled: 1-line block ×10, first 2 shown]
	s_waitcnt lgkmcnt(0)
	; wave barrier
	s_waitcnt lgkmcnt(0)
	ds_write_b16 v41, v19
	ds_write_b16 v41, v24 offset:16
	ds_write_b16 v29, v20
	ds_write_b16 v29, v18 offset:16
	;; [unrolled: 2-line block ×6, first 2 shown]
	v_and_b32_e32 v15, 15, v8
	v_lshlrev_b32_e32 v16, 2, v15
	s_waitcnt lgkmcnt(0)
	; wave barrier
	s_waitcnt lgkmcnt(0)
	global_load_dword v16, v16, s[4:5] offset:56
	v_and_b32_e32 v18, 15, v6
	v_lshlrev_b32_e32 v20, 2, v17
	v_lshlrev_b32_e32 v19, 2, v18
	global_load_dword v21, v20, s[4:5] offset:56
	global_load_ushort v22, v19, s[4:5] offset:56
	v_and_b32_e32 v19, 15, v1
	v_lshlrev_b32_e32 v23, 2, v19
	global_load_ushort v24, v23, s[4:5] offset:58
	global_load_ushort v25, v23, s[4:5] offset:56
	;; [unrolled: 1-line block ×3, first 2 shown]
	ds_read_u16 v20, v0 offset:784
	ds_read_u16 v23, v0
	ds_read_u16 v27, v0 offset:112
	ds_read_u16 v28, v0 offset:224
	;; [unrolled: 1-line block ×10, first 2 shown]
	s_movk_i32 s0, 0xe0
	v_and_or_b32 v14, v14, s0, v18
	s_movk_i32 s0, 0x1e0
	v_and_or_b32 v13, v13, s0, v15
	v_and_or_b32 v12, v12, s0, v19
	s_movk_i32 s0, 0x3e0
	v_and_or_b32 v11, v11, s0, v15
	s_movk_i32 s0, 0x2e0
	v_and_or_b32 v9, v9, s1, v15
	v_and_or_b32 v10, v10, s0, v17
	v_lshl_add_u32 v9, v9, 1, 0
	v_lshl_add_u32 v14, v14, 1, 0
	;; [unrolled: 1-line block ×6, first 2 shown]
	s_waitcnt lgkmcnt(0)
	; wave barrier
	s_waitcnt lgkmcnt(0)
	v_cmp_gt_u32_e64 s[0:1], 40, v8
	s_waitcnt vmcnt(5)
	v_mul_f16_sdwa v49, v31, v16 dst_sel:DWORD dst_unused:UNUSED_PAD src0_sel:DWORD src1_sel:WORD_1
	v_fma_f16 v49, v39, v16, -v49
	v_mul_f16_sdwa v39, v39, v16 dst_sel:DWORD dst_unused:UNUSED_PAD src0_sel:DWORD src1_sel:WORD_1
	v_fma_f16 v31, v31, v16, v39
	s_waitcnt vmcnt(4)
	v_mul_f16_sdwa v39, v20, v21 dst_sel:DWORD dst_unused:UNUSED_PAD src0_sel:DWORD src1_sel:WORD_1
	s_waitcnt vmcnt(3)
	v_fma_f16 v39, v33, v22, -v39
	v_mul_f16_sdwa v33, v33, v21 dst_sel:DWORD dst_unused:UNUSED_PAD src0_sel:DWORD src1_sel:WORD_1
	v_fma_f16 v20, v20, v22, v33
	v_mul_f16_sdwa v33, v42, v16 dst_sel:DWORD dst_unused:UNUSED_PAD src0_sel:DWORD src1_sel:WORD_1
	v_mul_f16_sdwa v22, v41, v16 dst_sel:DWORD dst_unused:UNUSED_PAD src0_sel:DWORD src1_sel:WORD_1
	v_fma_f16 v33, v41, v16, v33
	s_waitcnt vmcnt(2)
	v_mul_f16_e32 v41, v46, v24
	v_mul_f16_e32 v24, v43, v24
	v_fma_f16 v22, v42, v16, -v22
	s_waitcnt vmcnt(1)
	v_fma_f16 v41, v43, v25, -v41
	v_fma_f16 v24, v46, v25, v24
	v_mul_f16_sdwa v25, v47, v16 dst_sel:DWORD dst_unused:UNUSED_PAD src0_sel:DWORD src1_sel:WORD_1
	v_mul_f16_sdwa v42, v44, v16 dst_sel:DWORD dst_unused:UNUSED_PAD src0_sel:DWORD src1_sel:WORD_1
	v_fma_f16 v25, v44, v16, -v25
	v_fma_f16 v16, v47, v16, v42
	s_waitcnt vmcnt(0)
	v_mul_f16_e32 v42, v48, v26
	v_fma_f16 v42, v45, v21, -v42
	v_mul_f16_e32 v26, v45, v26
	v_fma_f16 v21, v48, v21, v26
	v_sub_f16_e32 v26, v34, v49
	v_sub_f16_e32 v31, v23, v31
	;; [unrolled: 1-line block ×7, first 2 shown]
	v_fma_f16 v34, v34, 2.0, -v26
	v_fma_f16 v23, v23, 2.0, -v31
	v_sub_f16_e32 v20, v27, v20
	v_fma_f16 v35, v35, 2.0, -v39
	v_sub_f16_e32 v33, v28, v33
	;; [unrolled: 2-line block ×5, first 2 shown]
	v_fma_f16 v40, v40, 2.0, -v42
	v_fma_f16 v27, v27, 2.0, -v20
	;; [unrolled: 1-line block ×6, first 2 shown]
	ds_write_b16 v9, v34
	ds_write_b16 v9, v26 offset:32
	ds_write_b16 v14, v35
	ds_write_b16 v14, v39 offset:32
	;; [unrolled: 2-line block ×6, first 2 shown]
	s_waitcnt lgkmcnt(0)
	; wave barrier
	s_waitcnt lgkmcnt(0)
	ds_read_u16 v25, v0
	ds_read_u16 v26, v0 offset:112
	ds_read_u16 v42, v0 offset:224
	ds_read_u16 v34, v0 offset:560
	ds_read_u16 v35, v0 offset:672
	ds_read_u16 v36, v0 offset:784
	ds_read_u16 v37, v0 offset:448
	ds_read_u16 v43, v0 offset:336
	ds_read_u16 v38, v0 offset:896
	ds_read_u16 v39, v0 offset:1008
	ds_read_u16 v40, v0 offset:1120
	ds_read_u16 v41, v0 offset:1232
	s_waitcnt lgkmcnt(0)
	; wave barrier
	s_waitcnt lgkmcnt(0)
	ds_write_b16 v9, v23
	ds_write_b16 v9, v31 offset:32
	ds_write_b16 v14, v27
	ds_write_b16 v14, v20 offset:32
	;; [unrolled: 2-line block ×6, first 2 shown]
	v_and_b32_e32 v24, 31, v8
	v_lshlrev_b32_e32 v9, 3, v24
	s_waitcnt lgkmcnt(0)
	; wave barrier
	s_waitcnt lgkmcnt(0)
	global_load_dwordx2 v[10:11], v9, s[4:5] offset:120
	v_and_b32_e32 v27, 31, v6
	v_lshlrev_b32_e32 v9, 3, v27
	global_load_dwordx2 v[12:13], v9, s[4:5] offset:120
	v_and_b32_e32 v44, 31, v7
	v_lshlrev_b32_e32 v9, 3, v44
	;; [unrolled: 3-line block ×3, first 2 shown]
	global_load_dwordx2 v[22:23], v9, s[4:5] offset:120
	ds_read_u16 v19, v0
	ds_read_u16 v17, v0 offset:112
	ds_read_u16 v16, v0 offset:224
	;; [unrolled: 1-line block ×11, first 2 shown]
	s_waitcnt lgkmcnt(0)
	; wave barrier
	s_waitcnt lgkmcnt(0)
	v_lshrrev_b32_e32 v7, 5, v7
	v_lshrrev_b32_e32 v1, 5, v1
	v_mul_u32_u24_e32 v7, 0x60, v7
	v_mul_u32_u24_e32 v1, 0x60, v1
	v_or_b32_e32 v7, v7, v44
	v_or_b32_e32 v1, v1, v45
	v_lshl_add_u32 v44, v7, 1, 0
	v_lshl_add_u32 v45, v1, 1, 0
	s_waitcnt vmcnt(3)
	v_mul_f16_sdwa v20, v21, v10 dst_sel:DWORD dst_unused:UNUSED_PAD src0_sel:DWORD src1_sel:WORD_1
	v_mul_f16_sdwa v30, v37, v10 dst_sel:DWORD dst_unused:UNUSED_PAD src0_sel:DWORD src1_sel:WORD_1
	v_fma_f16 v20, v37, v10, -v20
	v_fma_f16 v30, v21, v10, v30
	v_mul_f16_sdwa v10, v28, v11 dst_sel:DWORD dst_unused:UNUSED_PAD src0_sel:DWORD src1_sel:WORD_1
	v_fma_f16 v31, v38, v11, -v10
	v_mul_f16_sdwa v10, v38, v11 dst_sel:DWORD dst_unused:UNUSED_PAD src0_sel:DWORD src1_sel:WORD_1
	v_fma_f16 v38, v28, v11, v10
	s_waitcnt vmcnt(2)
	v_mul_f16_sdwa v10, v9, v12 dst_sel:DWORD dst_unused:UNUSED_PAD src0_sel:DWORD src1_sel:WORD_1
	v_fma_f16 v21, v34, v12, -v10
	v_mul_f16_sdwa v10, v34, v12 dst_sel:DWORD dst_unused:UNUSED_PAD src0_sel:DWORD src1_sel:WORD_1
	v_fma_f16 v32, v9, v12, v10
	v_mul_f16_sdwa v9, v47, v13 dst_sel:DWORD dst_unused:UNUSED_PAD src0_sel:DWORD src1_sel:WORD_1
	v_fma_f16 v33, v39, v13, -v9
	v_mul_f16_sdwa v9, v39, v13 dst_sel:DWORD dst_unused:UNUSED_PAD src0_sel:DWORD src1_sel:WORD_1
	v_fma_f16 v39, v47, v13, v9
	s_waitcnt vmcnt(1)
	v_mul_f16_sdwa v9, v29, v14 dst_sel:DWORD dst_unused:UNUSED_PAD src0_sel:DWORD src1_sel:WORD_1
	v_fma_f16 v28, v35, v14, -v9
	v_mul_f16_sdwa v9, v35, v14 dst_sel:DWORD dst_unused:UNUSED_PAD src0_sel:DWORD src1_sel:WORD_1
	;; [unrolled: 9-line block ×3, first 2 shown]
	v_fma_f16 v36, v46, v22, v9
	v_mul_f16_sdwa v9, v49, v23 dst_sel:DWORD dst_unused:UNUSED_PAD src0_sel:DWORD src1_sel:WORD_1
	v_fma_f16 v37, v41, v23, -v9
	v_mul_f16_sdwa v9, v41, v23 dst_sel:DWORD dst_unused:UNUSED_PAD src0_sel:DWORD src1_sel:WORD_1
	v_fma_f16 v41, v49, v23, v9
	v_add_f16_e32 v9, v25, v20
	v_add_f16_e32 v14, v9, v31
	v_add_f16_e32 v9, v20, v31
	v_fma_f16 v9, v9, -0.5, v25
	v_sub_f16_e32 v10, v30, v38
	v_fma_f16 v15, v10, s8, v9
	v_fma_f16 v22, v10, s9, v9
	v_add_f16_e32 v9, v26, v21
	v_add_f16_e32 v23, v9, v33
	v_add_f16_e32 v9, v21, v33
	v_fma_f16 v9, v9, -0.5, v26
	v_sub_f16_e32 v10, v32, v39
	v_fma_f16 v25, v10, s8, v9
	v_fma_f16 v26, v10, s9, v9
	v_add_f16_e32 v9, v42, v28
	v_add_f16_e32 v46, v9, v35
	v_add_f16_e32 v9, v28, v35
	v_add_f16_e32 v12, v29, v37
	v_fma_f16 v10, v9, -0.5, v42
	v_fma_f16 v13, v12, -0.5, v43
	v_sub_f16_e32 v42, v36, v41
	v_fma_f16 v12, v42, s8, v13
	v_fma_f16 v13, v42, s9, v13
	v_lshrrev_b32_e32 v42, 5, v8
	v_mul_u32_u24_e32 v42, 0x60, v42
	v_or_b32_e32 v24, v42, v24
	v_lshl_add_u32 v42, v24, 1, 0
	ds_write_b16 v42, v14
	ds_write_b16 v42, v15 offset:64
	ds_write_b16 v42, v22 offset:128
	v_lshrrev_b32_e32 v14, 5, v6
	v_sub_f16_e32 v11, v34, v40
	v_mul_u32_u24_e32 v14, 0x60, v14
	v_fma_f16 v9, v11, s8, v10
	v_fma_f16 v10, v11, s9, v10
	v_add_f16_e32 v11, v43, v29
	v_or_b32_e32 v14, v14, v27
	v_add_f16_e32 v11, v11, v37
	v_lshl_add_u32 v43, v14, 1, 0
	ds_write_b16 v43, v23
	ds_write_b16 v43, v25 offset:64
	ds_write_b16 v43, v26 offset:128
	ds_write_b16 v44, v46
	ds_write_b16 v44, v9 offset:64
	ds_write_b16 v44, v10 offset:128
	;; [unrolled: 3-line block ×3, first 2 shown]
	s_waitcnt lgkmcnt(0)
	; wave barrier
	s_waitcnt lgkmcnt(0)
	ds_read_u16 v1, v0
	ds_read_u16 v25, v0 offset:192
	ds_read_u16 v22, v0 offset:384
	;; [unrolled: 1-line block ×6, first 2 shown]
                                        ; implicit-def: $vgpr14
                                        ; implicit-def: $vgpr15
	s_and_saveexec_b64 s[6:7], s[0:1]
	s_cbranch_execz .LBB0_15
; %bb.14:
	ds_read_u16 v9, v0 offset:112
	ds_read_u16 v10, v0 offset:304
	;; [unrolled: 1-line block ×7, first 2 shown]
.LBB0_15:
	s_or_b64 exec, exec, s[6:7]
	v_add_f16_e32 v7, v19, v30
	v_add_f16_e32 v46, v7, v38
	;; [unrolled: 1-line block ×3, first 2 shown]
	v_fma_f16 v7, v7, -0.5, v19
	v_sub_f16_e32 v19, v20, v31
	v_fma_f16 v20, v19, s9, v7
	v_fma_f16 v30, v19, s8, v7
	v_add_f16_e32 v7, v17, v32
	v_add_f16_e32 v31, v7, v39
	;; [unrolled: 1-line block ×3, first 2 shown]
	v_fma_f16 v7, v7, -0.5, v17
	v_sub_f16_e32 v17, v21, v33
	v_fma_f16 v21, v17, s9, v7
	v_fma_f16 v32, v17, s8, v7
	v_add_f16_e32 v7, v16, v34
	v_add_f16_e32 v33, v7, v40
	;; [unrolled: 1-line block ×3, first 2 shown]
	v_fma_f16 v16, v7, -0.5, v16
	v_sub_f16_e32 v17, v28, v35
	v_add_f16_e32 v19, v36, v41
	v_fma_f16 v7, v17, s9, v16
	v_fma_f16 v16, v17, s8, v16
	v_add_f16_e32 v17, v18, v36
	v_fma_f16 v19, v19, -0.5, v18
	v_sub_f16_e32 v28, v29, v37
	v_add_f16_e32 v17, v17, v41
	v_fma_f16 v18, v28, s9, v19
	v_fma_f16 v19, v28, s8, v19
	s_waitcnt lgkmcnt(0)
	; wave barrier
	s_waitcnt lgkmcnt(0)
	ds_write_b16 v42, v46
	ds_write_b16 v42, v20 offset:64
	ds_write_b16 v42, v30 offset:128
	ds_write_b16 v43, v31
	ds_write_b16 v43, v21 offset:64
	ds_write_b16 v43, v32 offset:128
	;; [unrolled: 3-line block ×4, first 2 shown]
	s_waitcnt lgkmcnt(0)
	; wave barrier
	s_waitcnt lgkmcnt(0)
	ds_read_u16 v28, v0
	ds_read_u16 v30, v0 offset:192
	ds_read_u16 v29, v0 offset:384
	;; [unrolled: 1-line block ×6, first 2 shown]
                                        ; implicit-def: $vgpr20
                                        ; implicit-def: $vgpr21
	s_and_saveexec_b64 s[6:7], s[0:1]
	s_cbranch_execz .LBB0_17
; %bb.16:
	ds_read_u16 v7, v0 offset:112
	ds_read_u16 v16, v0 offset:304
	;; [unrolled: 1-line block ×7, first 2 shown]
.LBB0_17:
	s_or_b64 exec, exec, s[6:7]
	s_and_saveexec_b64 s[6:7], vcc
	s_cbranch_execz .LBB0_20
; %bb.18:
	v_mul_u32_u24_e32 v0, 6, v8
	v_lshlrev_b32_e32 v0, 2, v0
	global_load_dwordx4 v[36:39], v0, s[4:5] offset:376
	global_load_dwordx2 v[40:41], v0, s[4:5] offset:392
	v_mul_lo_u32 v0, s3, v4
	v_mul_lo_u32 v35, s2, v5
	v_mad_u64_u32 v[4:5], s[2:3], s2, v4, 0
	v_add3_u32 v5, v5, v35, v0
	s_movk_i32 s12, 0x3a52
	s_mov_b32 s6, 0xbcab
	s_movk_i32 s8, 0x3b00
	s_movk_i32 s13, 0x39e0
	;; [unrolled: 1-line block ×3, first 2 shown]
	s_mov_b32 s14, 0xaaaaaaab
	s_movk_i32 s3, 0x3574
	s_mov_b32 s9, 0xb574
	s_movk_i32 s7, 0x2b26
	s_waitcnt vmcnt(1) lgkmcnt(5)
	v_mul_f16_sdwa v0, v30, v36 dst_sel:DWORD dst_unused:UNUSED_PAD src0_sel:DWORD src1_sel:WORD_1
	s_waitcnt vmcnt(0) lgkmcnt(0)
	v_mul_f16_sdwa v35, v34, v41 dst_sel:DWORD dst_unused:UNUSED_PAD src0_sel:DWORD src1_sel:WORD_1
	v_mul_f16_sdwa v42, v32, v39 dst_sel:DWORD dst_unused:UNUSED_PAD src0_sel:DWORD src1_sel:WORD_1
	;; [unrolled: 1-line block ×11, first 2 shown]
	v_fma_f16 v0, v25, v36, -v0
	v_fma_f16 v25, v27, v41, -v35
	v_fma_f16 v26, v26, v39, -v42
	v_fma_f16 v23, v23, v38, -v43
	v_fma_f16 v22, v22, v37, -v44
	v_fma_f16 v24, v24, v40, -v45
	v_fma_f16 v31, v31, v38, v48
	v_fma_f16 v32, v32, v39, v49
	;; [unrolled: 1-line block ×6, first 2 shown]
	v_sub_f16_e32 v34, v0, v25
	v_sub_f16_e32 v35, v26, v23
	;; [unrolled: 1-line block ×3, first 2 shown]
	v_add_f16_e32 v38, v32, v31
	v_add_f16_e32 v39, v29, v33
	;; [unrolled: 1-line block ×6, first 2 shown]
	v_sub_f16_e32 v24, v30, v27
	v_sub_f16_e32 v25, v32, v31
	;; [unrolled: 1-line block ×5, first 2 shown]
	v_add_f16_e32 v41, v0, v22
	v_sub_f16_e32 v27, v34, v35
	v_sub_f16_e32 v29, v35, v36
	v_add_f16_e32 v30, v35, v36
	v_sub_f16_e32 v31, v37, v38
	v_add_f16_e32 v33, v37, v39
	v_sub_f16_e32 v35, v0, v23
	v_sub_f16_e32 v42, v24, v25
	;; [unrolled: 1-line block ×3, first 2 shown]
	v_add_f16_e32 v25, v25, v26
	v_mul_f16_e32 v32, 0x2b26, v32
	v_mul_f16_e32 v40, 0x2b26, v40
	v_add_f16_e32 v23, v23, v41
	v_sub_f16_e32 v36, v36, v34
	v_add_f16_e32 v30, v34, v30
	v_mul_f16_e32 v34, 0x3a52, v31
	v_add_f16_e32 v33, v38, v33
	v_mul_f16_e32 v38, 0x3a52, v35
	v_mul_f16_e32 v41, 0xb846, v43
	v_add_f16_e32 v25, v24, v25
	v_fma_f16 v31, v31, s12, v32
	v_fma_f16 v35, v35, s12, v40
	v_add_f16_e32 v45, v1, v23
	s_mov_b32 s12, 0xb9e0
	v_sub_f16_e32 v0, v22, v0
	v_sub_f16_e32 v24, v26, v24
	v_fma_f16 v23, v23, s6, v45
	v_fma_f16 v22, v0, s12, -v38
	v_mul_f16_e32 v26, 0x3b00, v24
	v_fma_f16 v24, v24, s8, -v41
	v_fma_f16 v0, v0, s13, -v40
	v_fma_f16 v24, v25, s2, v24
	v_add_f16_e32 v0, v0, v23
	v_mul_f16_e32 v29, 0xb846, v29
	v_add_f16_e32 v28, v28, v33
	v_add_f16_e32 v35, v35, v23
	v_sub_f16_e32 v37, v39, v37
	v_add_f16_e32 v22, v22, v23
	v_add_f16_e32 v23, v24, v0
	v_sub_f16_e32 v24, v0, v24
	v_mul_hi_u32 v0, v8, s14
	v_mul_f16_e32 v43, 0x3b00, v36
	v_fma_f16 v44, v27, s3, v29
	v_fma_f16 v1, v42, s3, v41
	;; [unrolled: 1-line block ×3, first 2 shown]
	v_fma_f16 v26, v42, s9, -v26
	v_fma_f16 v32, v37, s13, -v32
	;; [unrolled: 1-line block ×3, first 2 shown]
	v_lshrrev_b32_e32 v0, 6, v0
	s_movk_i32 s14, 0x60
	v_fma_f16 v27, v27, s9, -v43
	v_fma_f16 v43, v30, s2, v44
	v_fma_f16 v1, v25, s2, v1
	v_add_f16_e32 v31, v31, v33
	v_fma_f16 v26, v25, s2, v26
	v_add_f16_e32 v32, v32, v33
	v_fma_f16 v29, v30, s2, v29
	v_mul_lo_u32 v0, v0, s14
	v_add_f16_e32 v44, v43, v31
	v_sub_f16_e32 v46, v35, v1
	v_fma_f16 v27, v30, s2, v27
	v_sub_f16_e32 v38, v22, v26
	v_sub_f16_e32 v30, v32, v29
	v_add_f16_e32 v25, v29, v32
	v_add_f16_e32 v22, v26, v22
	v_sub_f16_e32 v26, v31, v43
	v_add_f16_e32 v29, v1, v35
	v_sub_u32_e32 v31, v8, v0
	v_lshl_add_u64 v[0:1], v[4:5], 2, s[10:11]
	v_fma_f16 v34, v37, s12, -v34
	v_lshl_add_u64 v[0:1], v[2:3], 2, v[0:1]
	v_lshlrev_b32_e32 v2, 2, v31
	v_mov_b32_e32 v3, 0
	v_add_f16_e32 v34, v34, v33
	v_lshl_add_u64 v[4:5], v[0:1], 0, v[2:3]
	v_pack_b32_f16 v2, v45, v28
	v_add_f16_e32 v39, v27, v34
	v_sub_f16_e32 v27, v34, v27
	global_store_dword v[4:5], v2, off
	v_pack_b32_f16 v2, v29, v26
	global_store_dword v[4:5], v2, off offset:384
	v_pack_b32_f16 v2, v22, v27
	global_store_dword v[4:5], v2, off offset:768
	;; [unrolled: 2-line block ×6, first 2 shown]
	v_add_u32_e32 v4, 56, v8
	v_cmp_gt_u32_e32 vcc, s14, v4
	s_and_b64 exec, exec, vcc
	s_cbranch_execz .LBB0_20
; %bb.19:
	v_subrev_u32_e32 v2, 40, v8
	v_cndmask_b32_e64 v2, v2, v6, s[0:1]
	v_mul_i32_i24_e32 v2, 6, v2
	v_lshl_add_u64 v[26:27], v[2:3], 2, s[4:5]
	global_load_dwordx4 v[22:25], v[26:27], off offset:376
	global_load_dwordx2 v[28:29], v[26:27], off offset:392
	s_waitcnt vmcnt(1)
	v_mul_f16_sdwa v2, v16, v22 dst_sel:DWORD dst_unused:UNUSED_PAD src0_sel:DWORD src1_sel:WORD_1
	v_mul_f16_sdwa v5, v10, v22 dst_sel:DWORD dst_unused:UNUSED_PAD src0_sel:DWORD src1_sel:WORD_1
	;; [unrolled: 1-line block ×6, first 2 shown]
	s_waitcnt vmcnt(0)
	v_mul_f16_sdwa v33, v21, v28 dst_sel:DWORD dst_unused:UNUSED_PAD src0_sel:DWORD src1_sel:WORD_1
	v_mul_f16_sdwa v34, v15, v28 dst_sel:DWORD dst_unused:UNUSED_PAD src0_sel:DWORD src1_sel:WORD_1
	;; [unrolled: 1-line block ×6, first 2 shown]
	v_fma_f16 v2, v10, v22, -v2
	v_fma_f16 v5, v16, v22, v5
	v_fma_f16 v6, v11, v23, -v6
	v_fma_f16 v10, v17, v23, v26
	;; [unrolled: 2-line block ×6, first 2 shown]
	v_add_f16_e32 v19, v2, v14
	v_add_f16_e32 v20, v5, v18
	v_sub_f16_e32 v2, v2, v14
	v_sub_f16_e32 v5, v5, v18
	v_add_f16_e32 v14, v6, v15
	v_add_f16_e32 v18, v10, v17
	v_sub_f16_e32 v6, v6, v15
	v_sub_f16_e32 v10, v10, v17
	;; [unrolled: 4-line block ×4, first 2 shown]
	v_sub_f16_e32 v19, v19, v15
	v_sub_f16_e32 v20, v20, v17
	;; [unrolled: 1-line block ×4, first 2 shown]
	v_add_f16_e32 v24, v12, v10
	v_sub_f16_e32 v26, v12, v10
	v_sub_f16_e32 v10, v10, v5
	v_add_f16_e32 v13, v15, v13
	v_add_f16_e32 v15, v17, v16
	;; [unrolled: 1-line block ×3, first 2 shown]
	v_sub_f16_e32 v25, v11, v6
	v_sub_f16_e32 v12, v5, v12
	;; [unrolled: 1-line block ×3, first 2 shown]
	v_add_f16_e32 v5, v24, v5
	v_mul_f16_e32 v16, 0x3a52, v19
	v_mul_f16_e32 v17, 0x3a52, v20
	v_mul_f16_e32 v19, 0x2b26, v14
	v_mul_f16_e32 v20, 0x2b26, v18
	v_mul_f16_e32 v24, 0xb846, v26
	v_mul_f16_e32 v26, 0x3b00, v10
	v_add_f16_e32 v9, v9, v13
	v_add_f16_e32 v7, v7, v15
	v_sub_f16_e32 v11, v2, v11
	v_add_f16_e32 v2, v23, v2
	v_mul_f16_e32 v23, 0xb846, v25
	v_mul_f16_e32 v25, 0x3b00, v6
	v_fma_f16 v14, v14, s7, v16
	v_fma_f16 v18, v18, s7, v17
	v_fma_f16 v19, v21, s13, -v19
	v_fma_f16 v20, v22, s13, -v20
	;; [unrolled: 1-line block ×4, first 2 shown]
	v_fma_f16 v22, v12, s3, v24
	v_fma_f16 v10, v10, s8, -v24
	v_fma_f16 v12, v12, s9, -v26
	v_fma_f16 v13, v13, s6, v9
	v_fma_f16 v15, v15, s6, v7
	;; [unrolled: 1-line block ×3, first 2 shown]
	v_fma_f16 v6, v6, s8, -v23
	v_fma_f16 v11, v11, s9, -v25
	v_add_f16_e32 v14, v14, v13
	v_add_f16_e32 v18, v18, v15
	;; [unrolled: 1-line block ×6, first 2 shown]
	v_fma_f16 v17, v5, s2, v22
	v_fma_f16 v10, v5, s2, v10
	;; [unrolled: 1-line block ×6, first 2 shown]
	v_add_f16_e32 v21, v5, v13
	v_sub_f16_e32 v13, v13, v5
	v_mov_b32_e32 v5, v3
	v_sub_f16_e32 v22, v15, v2
	v_add_f16_e32 v15, v2, v15
	v_lshl_add_u64 v[4:5], v[4:5], 2, v[0:1]
	v_pack_b32_f16 v2, v9, v7
	v_add_f16_e32 v11, v17, v14
	v_sub_f16_e32 v12, v18, v16
	global_store_dword v[4:5], v2, off
	v_add_u32_e32 v2, 0x98, v8
	v_lshl_add_u64 v[4:5], v[2:3], 2, v[0:1]
	v_pack_b32_f16 v2, v11, v12
	global_store_dword v[4:5], v2, off
	v_add_u32_e32 v2, 0xf8, v8
	v_lshl_add_u64 v[4:5], v[2:3], 2, v[0:1]
	v_pack_b32_f16 v2, v21, v22
	v_sub_f16_e32 v23, v19, v10
	v_add_f16_e32 v24, v6, v20
	global_store_dword v[4:5], v2, off
	v_add_u32_e32 v2, 0x158, v8
	v_lshl_add_u64 v[4:5], v[2:3], 2, v[0:1]
	v_pack_b32_f16 v2, v23, v24
	v_add_f16_e32 v10, v10, v19
	v_sub_f16_e32 v6, v20, v6
	global_store_dword v[4:5], v2, off
	v_add_u32_e32 v2, 0x1b8, v8
	v_lshl_add_u64 v[4:5], v[2:3], 2, v[0:1]
	v_pack_b32_f16 v2, v10, v6
	global_store_dword v[4:5], v2, off
	v_add_u32_e32 v2, 0x218, v8
	v_lshl_add_u64 v[4:5], v[2:3], 2, v[0:1]
	v_pack_b32_f16 v2, v13, v15
	v_sub_f16_e32 v14, v14, v17
	v_add_f16_e32 v16, v16, v18
	global_store_dword v[4:5], v2, off
	v_add_u32_e32 v2, 0x278, v8
	v_lshl_add_u64 v[0:1], v[2:3], 2, v[0:1]
	v_pack_b32_f16 v2, v14, v16
	global_store_dword v[0:1], v2, off
.LBB0_20:
	s_endpgm
	.section	.rodata,"a",@progbits
	.p2align	6, 0x0
	.amdhsa_kernel fft_rtc_fwd_len672_factors_2_2_2_2_2_3_7_wgs_56_tpt_56_halfLds_half_op_CI_CI_unitstride_sbrr_dirReg
		.amdhsa_group_segment_fixed_size 0
		.amdhsa_private_segment_fixed_size 0
		.amdhsa_kernarg_size 104
		.amdhsa_user_sgpr_count 2
		.amdhsa_user_sgpr_dispatch_ptr 0
		.amdhsa_user_sgpr_queue_ptr 0
		.amdhsa_user_sgpr_kernarg_segment_ptr 1
		.amdhsa_user_sgpr_dispatch_id 0
		.amdhsa_user_sgpr_kernarg_preload_length 0
		.amdhsa_user_sgpr_kernarg_preload_offset 0
		.amdhsa_user_sgpr_private_segment_size 0
		.amdhsa_uses_dynamic_stack 0
		.amdhsa_enable_private_segment 0
		.amdhsa_system_sgpr_workgroup_id_x 1
		.amdhsa_system_sgpr_workgroup_id_y 0
		.amdhsa_system_sgpr_workgroup_id_z 0
		.amdhsa_system_sgpr_workgroup_info 0
		.amdhsa_system_vgpr_workitem_id 0
		.amdhsa_next_free_vgpr 52
		.amdhsa_next_free_sgpr 28
		.amdhsa_accum_offset 52
		.amdhsa_reserve_vcc 1
		.amdhsa_float_round_mode_32 0
		.amdhsa_float_round_mode_16_64 0
		.amdhsa_float_denorm_mode_32 3
		.amdhsa_float_denorm_mode_16_64 3
		.amdhsa_dx10_clamp 1
		.amdhsa_ieee_mode 1
		.amdhsa_fp16_overflow 0
		.amdhsa_tg_split 0
		.amdhsa_exception_fp_ieee_invalid_op 0
		.amdhsa_exception_fp_denorm_src 0
		.amdhsa_exception_fp_ieee_div_zero 0
		.amdhsa_exception_fp_ieee_overflow 0
		.amdhsa_exception_fp_ieee_underflow 0
		.amdhsa_exception_fp_ieee_inexact 0
		.amdhsa_exception_int_div_zero 0
	.end_amdhsa_kernel
	.text
.Lfunc_end0:
	.size	fft_rtc_fwd_len672_factors_2_2_2_2_2_3_7_wgs_56_tpt_56_halfLds_half_op_CI_CI_unitstride_sbrr_dirReg, .Lfunc_end0-fft_rtc_fwd_len672_factors_2_2_2_2_2_3_7_wgs_56_tpt_56_halfLds_half_op_CI_CI_unitstride_sbrr_dirReg
                                        ; -- End function
	.section	.AMDGPU.csdata,"",@progbits
; Kernel info:
; codeLenInByte = 8908
; NumSgprs: 34
; NumVgprs: 52
; NumAgprs: 0
; TotalNumVgprs: 52
; ScratchSize: 0
; MemoryBound: 0
; FloatMode: 240
; IeeeMode: 1
; LDSByteSize: 0 bytes/workgroup (compile time only)
; SGPRBlocks: 4
; VGPRBlocks: 6
; NumSGPRsForWavesPerEU: 34
; NumVGPRsForWavesPerEU: 52
; AccumOffset: 52
; Occupancy: 8
; WaveLimiterHint : 1
; COMPUTE_PGM_RSRC2:SCRATCH_EN: 0
; COMPUTE_PGM_RSRC2:USER_SGPR: 2
; COMPUTE_PGM_RSRC2:TRAP_HANDLER: 0
; COMPUTE_PGM_RSRC2:TGID_X_EN: 1
; COMPUTE_PGM_RSRC2:TGID_Y_EN: 0
; COMPUTE_PGM_RSRC2:TGID_Z_EN: 0
; COMPUTE_PGM_RSRC2:TIDIG_COMP_CNT: 0
; COMPUTE_PGM_RSRC3_GFX90A:ACCUM_OFFSET: 12
; COMPUTE_PGM_RSRC3_GFX90A:TG_SPLIT: 0
	.text
	.p2alignl 6, 3212836864
	.fill 256, 4, 3212836864
	.type	__hip_cuid_94213e76f4a99255,@object ; @__hip_cuid_94213e76f4a99255
	.section	.bss,"aw",@nobits
	.globl	__hip_cuid_94213e76f4a99255
__hip_cuid_94213e76f4a99255:
	.byte	0                               ; 0x0
	.size	__hip_cuid_94213e76f4a99255, 1

	.ident	"AMD clang version 19.0.0git (https://github.com/RadeonOpenCompute/llvm-project roc-6.4.0 25133 c7fe45cf4b819c5991fe208aaa96edf142730f1d)"
	.section	".note.GNU-stack","",@progbits
	.addrsig
	.addrsig_sym __hip_cuid_94213e76f4a99255
	.amdgpu_metadata
---
amdhsa.kernels:
  - .agpr_count:     0
    .args:
      - .actual_access:  read_only
        .address_space:  global
        .offset:         0
        .size:           8
        .value_kind:     global_buffer
      - .offset:         8
        .size:           8
        .value_kind:     by_value
      - .actual_access:  read_only
        .address_space:  global
        .offset:         16
        .size:           8
        .value_kind:     global_buffer
      - .actual_access:  read_only
        .address_space:  global
        .offset:         24
        .size:           8
        .value_kind:     global_buffer
      - .actual_access:  read_only
        .address_space:  global
        .offset:         32
        .size:           8
        .value_kind:     global_buffer
      - .offset:         40
        .size:           8
        .value_kind:     by_value
      - .actual_access:  read_only
        .address_space:  global
        .offset:         48
        .size:           8
        .value_kind:     global_buffer
      - .actual_access:  read_only
        .address_space:  global
        .offset:         56
        .size:           8
        .value_kind:     global_buffer
      - .offset:         64
        .size:           4
        .value_kind:     by_value
      - .actual_access:  read_only
        .address_space:  global
        .offset:         72
        .size:           8
        .value_kind:     global_buffer
      - .actual_access:  read_only
        .address_space:  global
        .offset:         80
        .size:           8
        .value_kind:     global_buffer
      - .actual_access:  read_only
        .address_space:  global
        .offset:         88
        .size:           8
        .value_kind:     global_buffer
      - .actual_access:  write_only
        .address_space:  global
        .offset:         96
        .size:           8
        .value_kind:     global_buffer
    .group_segment_fixed_size: 0
    .kernarg_segment_align: 8
    .kernarg_segment_size: 104
    .language:       OpenCL C
    .language_version:
      - 2
      - 0
    .max_flat_workgroup_size: 56
    .name:           fft_rtc_fwd_len672_factors_2_2_2_2_2_3_7_wgs_56_tpt_56_halfLds_half_op_CI_CI_unitstride_sbrr_dirReg
    .private_segment_fixed_size: 0
    .sgpr_count:     34
    .sgpr_spill_count: 0
    .symbol:         fft_rtc_fwd_len672_factors_2_2_2_2_2_3_7_wgs_56_tpt_56_halfLds_half_op_CI_CI_unitstride_sbrr_dirReg.kd
    .uniform_work_group_size: 1
    .uses_dynamic_stack: false
    .vgpr_count:     52
    .vgpr_spill_count: 0
    .wavefront_size: 64
amdhsa.target:   amdgcn-amd-amdhsa--gfx950
amdhsa.version:
  - 1
  - 2
...

	.end_amdgpu_metadata
